;; amdgpu-corpus repo=ROCm/rocFFT kind=compiled arch=gfx906 opt=O3
	.text
	.amdgcn_target "amdgcn-amd-amdhsa--gfx906"
	.amdhsa_code_object_version 6
	.protected	fft_rtc_fwd_len84_factors_7_2_6_wgs_120_tpt_12_halfLds_dp_op_CI_CI_unitstride_sbrr_dirReg ; -- Begin function fft_rtc_fwd_len84_factors_7_2_6_wgs_120_tpt_12_halfLds_dp_op_CI_CI_unitstride_sbrr_dirReg
	.globl	fft_rtc_fwd_len84_factors_7_2_6_wgs_120_tpt_12_halfLds_dp_op_CI_CI_unitstride_sbrr_dirReg
	.p2align	8
	.type	fft_rtc_fwd_len84_factors_7_2_6_wgs_120_tpt_12_halfLds_dp_op_CI_CI_unitstride_sbrr_dirReg,@function
fft_rtc_fwd_len84_factors_7_2_6_wgs_120_tpt_12_halfLds_dp_op_CI_CI_unitstride_sbrr_dirReg: ; @fft_rtc_fwd_len84_factors_7_2_6_wgs_120_tpt_12_halfLds_dp_op_CI_CI_unitstride_sbrr_dirReg
; %bb.0:
	s_load_dwordx4 s[12:15], s[4:5], 0x58
	s_load_dwordx4 s[8:11], s[4:5], 0x0
	;; [unrolled: 1-line block ×3, first 2 shown]
	v_mul_u32_u24_e32 v1, 0x1556, v0
	v_lshrrev_b32_e32 v1, 16, v1
	v_mad_u64_u32 v[4:5], s[0:1], s6, 10, v[1:2]
	v_mov_b32_e32 v1, 0
	v_mov_b32_e32 v6, 0
	;; [unrolled: 1-line block ×3, first 2 shown]
	s_waitcnt lgkmcnt(0)
	v_cmp_lt_u64_e64 s[0:1], s[10:11], 2
	v_mov_b32_e32 v7, 0
	v_mov_b32_e32 v55, v7
	;; [unrolled: 1-line block ×3, first 2 shown]
	s_and_b64 vcc, exec, s[0:1]
	v_mov_b32_e32 v54, v6
	v_mov_b32_e32 v56, v4
	s_cbranch_vccnz .LBB0_8
; %bb.1:
	s_load_dwordx2 s[0:1], s[4:5], 0x10
	s_add_u32 s2, s18, 8
	s_addc_u32 s3, s19, 0
	s_add_u32 s6, s16, 8
	v_mov_b32_e32 v6, 0
	s_addc_u32 s7, s17, 0
	v_mov_b32_e32 v7, 0
	s_waitcnt lgkmcnt(0)
	s_add_u32 s20, s0, 8
	v_mov_b32_e32 v55, v7
	v_mov_b32_e32 v9, v5
	s_addc_u32 s21, s1, 0
	s_mov_b64 s[22:23], 1
	v_mov_b32_e32 v54, v6
	v_mov_b32_e32 v8, v4
.LBB0_2:                                ; =>This Inner Loop Header: Depth=1
	s_load_dwordx2 s[24:25], s[20:21], 0x0
                                        ; implicit-def: $vgpr56_vgpr57
	s_waitcnt lgkmcnt(0)
	v_or_b32_e32 v2, s25, v9
	v_cmp_ne_u64_e32 vcc, 0, v[1:2]
	s_and_saveexec_b64 s[0:1], vcc
	s_xor_b64 s[26:27], exec, s[0:1]
	s_cbranch_execz .LBB0_4
; %bb.3:                                ;   in Loop: Header=BB0_2 Depth=1
	v_cvt_f32_u32_e32 v2, s24
	v_cvt_f32_u32_e32 v3, s25
	s_sub_u32 s0, 0, s24
	s_subb_u32 s1, 0, s25
	v_mac_f32_e32 v2, 0x4f800000, v3
	v_rcp_f32_e32 v2, v2
	v_mul_f32_e32 v2, 0x5f7ffffc, v2
	v_mul_f32_e32 v3, 0x2f800000, v2
	v_trunc_f32_e32 v3, v3
	v_mac_f32_e32 v2, 0xcf800000, v3
	v_cvt_u32_f32_e32 v3, v3
	v_cvt_u32_f32_e32 v2, v2
	v_mul_lo_u32 v5, s0, v3
	v_mul_hi_u32 v10, s0, v2
	v_mul_lo_u32 v12, s1, v2
	v_mul_lo_u32 v11, s0, v2
	v_add_u32_e32 v5, v10, v5
	v_add_u32_e32 v5, v5, v12
	v_mul_hi_u32 v10, v2, v11
	v_mul_lo_u32 v12, v2, v5
	v_mul_hi_u32 v14, v2, v5
	v_mul_hi_u32 v13, v3, v11
	v_mul_lo_u32 v11, v3, v11
	v_mul_hi_u32 v15, v3, v5
	v_add_co_u32_e32 v10, vcc, v10, v12
	v_addc_co_u32_e32 v12, vcc, 0, v14, vcc
	v_mul_lo_u32 v5, v3, v5
	v_add_co_u32_e32 v10, vcc, v10, v11
	v_addc_co_u32_e32 v10, vcc, v12, v13, vcc
	v_addc_co_u32_e32 v11, vcc, 0, v15, vcc
	v_add_co_u32_e32 v5, vcc, v10, v5
	v_addc_co_u32_e32 v10, vcc, 0, v11, vcc
	v_add_co_u32_e32 v2, vcc, v2, v5
	v_addc_co_u32_e32 v3, vcc, v3, v10, vcc
	v_mul_lo_u32 v5, s0, v3
	v_mul_hi_u32 v10, s0, v2
	v_mul_lo_u32 v11, s1, v2
	v_mul_lo_u32 v12, s0, v2
	v_add_u32_e32 v5, v10, v5
	v_add_u32_e32 v5, v5, v11
	v_mul_lo_u32 v13, v2, v5
	v_mul_hi_u32 v14, v2, v12
	v_mul_hi_u32 v15, v2, v5
	;; [unrolled: 1-line block ×3, first 2 shown]
	v_mul_lo_u32 v12, v3, v12
	v_mul_hi_u32 v10, v3, v5
	v_add_co_u32_e32 v13, vcc, v14, v13
	v_addc_co_u32_e32 v14, vcc, 0, v15, vcc
	v_mul_lo_u32 v5, v3, v5
	v_add_co_u32_e32 v12, vcc, v13, v12
	v_addc_co_u32_e32 v11, vcc, v14, v11, vcc
	v_addc_co_u32_e32 v10, vcc, 0, v10, vcc
	v_add_co_u32_e32 v5, vcc, v11, v5
	v_addc_co_u32_e32 v10, vcc, 0, v10, vcc
	v_add_co_u32_e32 v5, vcc, v2, v5
	v_addc_co_u32_e32 v10, vcc, v3, v10, vcc
	v_mad_u64_u32 v[2:3], s[0:1], v8, v10, 0
	v_mul_hi_u32 v11, v8, v5
	v_add_co_u32_e32 v12, vcc, v11, v2
	v_addc_co_u32_e32 v13, vcc, 0, v3, vcc
	v_mad_u64_u32 v[2:3], s[0:1], v9, v5, 0
	v_mad_u64_u32 v[10:11], s[0:1], v9, v10, 0
	v_add_co_u32_e32 v2, vcc, v12, v2
	v_addc_co_u32_e32 v2, vcc, v13, v3, vcc
	v_addc_co_u32_e32 v3, vcc, 0, v11, vcc
	v_add_co_u32_e32 v5, vcc, v2, v10
	v_addc_co_u32_e32 v10, vcc, 0, v3, vcc
	v_mul_lo_u32 v11, s25, v5
	v_mul_lo_u32 v12, s24, v10
	v_mad_u64_u32 v[2:3], s[0:1], s24, v5, 0
	v_add3_u32 v3, v3, v12, v11
	v_sub_u32_e32 v11, v9, v3
	v_mov_b32_e32 v12, s25
	v_sub_co_u32_e32 v2, vcc, v8, v2
	v_subb_co_u32_e64 v11, s[0:1], v11, v12, vcc
	v_subrev_co_u32_e64 v12, s[0:1], s24, v2
	v_subbrev_co_u32_e64 v11, s[0:1], 0, v11, s[0:1]
	v_cmp_le_u32_e64 s[0:1], s25, v11
	v_cndmask_b32_e64 v13, 0, -1, s[0:1]
	v_cmp_le_u32_e64 s[0:1], s24, v12
	v_cndmask_b32_e64 v12, 0, -1, s[0:1]
	v_cmp_eq_u32_e64 s[0:1], s25, v11
	v_cndmask_b32_e64 v11, v13, v12, s[0:1]
	v_add_co_u32_e64 v12, s[0:1], 2, v5
	v_addc_co_u32_e64 v13, s[0:1], 0, v10, s[0:1]
	v_add_co_u32_e64 v14, s[0:1], 1, v5
	v_addc_co_u32_e64 v15, s[0:1], 0, v10, s[0:1]
	v_subb_co_u32_e32 v3, vcc, v9, v3, vcc
	v_cmp_ne_u32_e64 s[0:1], 0, v11
	v_cmp_le_u32_e32 vcc, s25, v3
	v_cndmask_b32_e64 v11, v15, v13, s[0:1]
	v_cndmask_b32_e64 v13, 0, -1, vcc
	v_cmp_le_u32_e32 vcc, s24, v2
	v_cndmask_b32_e64 v2, 0, -1, vcc
	v_cmp_eq_u32_e32 vcc, s25, v3
	v_cndmask_b32_e32 v2, v13, v2, vcc
	v_cmp_ne_u32_e32 vcc, 0, v2
	v_cndmask_b32_e64 v2, v14, v12, s[0:1]
	v_cndmask_b32_e32 v57, v10, v11, vcc
	v_cndmask_b32_e32 v56, v5, v2, vcc
.LBB0_4:                                ;   in Loop: Header=BB0_2 Depth=1
	s_andn2_saveexec_b64 s[0:1], s[26:27]
	s_cbranch_execz .LBB0_6
; %bb.5:                                ;   in Loop: Header=BB0_2 Depth=1
	v_cvt_f32_u32_e32 v2, s24
	s_sub_i32 s26, 0, s24
	v_mov_b32_e32 v57, v1
	v_rcp_iflag_f32_e32 v2, v2
	v_mul_f32_e32 v2, 0x4f7ffffe, v2
	v_cvt_u32_f32_e32 v2, v2
	v_mul_lo_u32 v3, s26, v2
	v_mul_hi_u32 v3, v2, v3
	v_add_u32_e32 v2, v2, v3
	v_mul_hi_u32 v2, v8, v2
	v_mul_lo_u32 v3, v2, s24
	v_add_u32_e32 v5, 1, v2
	v_sub_u32_e32 v3, v8, v3
	v_subrev_u32_e32 v10, s24, v3
	v_cmp_le_u32_e32 vcc, s24, v3
	v_cndmask_b32_e32 v3, v3, v10, vcc
	v_cndmask_b32_e32 v2, v2, v5, vcc
	v_add_u32_e32 v5, 1, v2
	v_cmp_le_u32_e32 vcc, s24, v3
	v_cndmask_b32_e32 v56, v2, v5, vcc
.LBB0_6:                                ;   in Loop: Header=BB0_2 Depth=1
	s_or_b64 exec, exec, s[0:1]
	v_mul_lo_u32 v5, v57, s24
	v_mul_lo_u32 v10, v56, s25
	v_mad_u64_u32 v[2:3], s[0:1], v56, s24, 0
	s_load_dwordx2 s[0:1], s[6:7], 0x0
	s_load_dwordx2 s[24:25], s[2:3], 0x0
	v_add3_u32 v3, v3, v10, v5
	v_sub_co_u32_e32 v2, vcc, v8, v2
	v_subb_co_u32_e32 v3, vcc, v9, v3, vcc
	s_waitcnt lgkmcnt(0)
	v_mul_lo_u32 v5, s0, v3
	v_mul_lo_u32 v8, s1, v2
	v_mad_u64_u32 v[6:7], s[0:1], s0, v2, v[6:7]
	v_mul_lo_u32 v3, s24, v3
	v_mul_lo_u32 v9, s25, v2
	v_mad_u64_u32 v[54:55], s[0:1], s24, v2, v[54:55]
	s_add_u32 s22, s22, 1
	s_addc_u32 s23, s23, 0
	s_add_u32 s2, s2, 8
	v_add3_u32 v55, v9, v55, v3
	s_addc_u32 s3, s3, 0
	v_mov_b32_e32 v2, s10
	s_add_u32 s6, s6, 8
	v_mov_b32_e32 v3, s11
	s_addc_u32 s7, s7, 0
	v_cmp_ge_u64_e32 vcc, s[22:23], v[2:3]
	s_add_u32 s20, s20, 8
	v_add3_u32 v7, v8, v7, v5
	s_addc_u32 s21, s21, 0
	s_cbranch_vccnz .LBB0_8
; %bb.7:                                ;   in Loop: Header=BB0_2 Depth=1
	v_mov_b32_e32 v8, v56
	v_mov_b32_e32 v9, v57
	s_branch .LBB0_2
.LBB0_8:
	s_load_dwordx2 s[0:1], s[4:5], 0x28
	s_lshl_b64 s[6:7], s[10:11], 3
	s_add_u32 s2, s18, s6
	s_addc_u32 s3, s19, s7
                                        ; implicit-def: $vgpr68
	s_waitcnt lgkmcnt(0)
	v_cmp_gt_u64_e32 vcc, s[0:1], v[56:57]
	v_cmp_le_u64_e64 s[0:1], s[0:1], v[56:57]
	s_and_saveexec_b64 s[4:5], s[0:1]
	s_xor_b64 s[0:1], exec, s[4:5]
; %bb.9:
	s_mov_b32 s4, 0x15555556
	v_mul_hi_u32 v1, v0, s4
                                        ; implicit-def: $vgpr6_vgpr7
	v_mul_u32_u24_e32 v1, 12, v1
	v_sub_u32_e32 v68, v0, v1
                                        ; implicit-def: $vgpr0
; %bb.10:
	s_or_saveexec_b64 s[4:5], s[0:1]
                                        ; implicit-def: $vgpr40_vgpr41
                                        ; implicit-def: $vgpr36_vgpr37
                                        ; implicit-def: $vgpr32_vgpr33
                                        ; implicit-def: $vgpr28_vgpr29
                                        ; implicit-def: $vgpr24_vgpr25
                                        ; implicit-def: $vgpr20_vgpr21
                                        ; implicit-def: $vgpr2_vgpr3
	s_xor_b64 exec, exec, s[4:5]
	s_cbranch_execz .LBB0_12
; %bb.11:
	s_add_u32 s0, s16, s6
	s_addc_u32 s1, s17, s7
	s_load_dwordx2 s[0:1], s[0:1], 0x0
	s_mov_b32 s6, 0x15555556
	v_mul_hi_u32 v3, v0, s6
	s_waitcnt lgkmcnt(0)
	v_mul_lo_u32 v5, s1, v56
	v_mul_lo_u32 v8, s0, v57
	v_mad_u64_u32 v[1:2], s[0:1], s0, v56, 0
	v_mul_u32_u24_e32 v3, 12, v3
	v_sub_u32_e32 v68, v0, v3
	v_add3_u32 v2, v2, v8, v5
	v_lshlrev_b64 v[0:1], 4, v[1:2]
	v_mov_b32_e32 v2, s13
	v_add_co_u32_e64 v3, s[0:1], s12, v0
	v_addc_co_u32_e64 v2, s[0:1], v2, v1, s[0:1]
	v_lshlrev_b64 v[0:1], 4, v[6:7]
	v_add_co_u32_e64 v0, s[0:1], v3, v0
	v_addc_co_u32_e64 v1, s[0:1], v2, v1, s[0:1]
	v_lshlrev_b32_e32 v2, 4, v68
	v_add_co_u32_e64 v5, s[0:1], v0, v2
	v_addc_co_u32_e64 v6, s[0:1], 0, v1, s[0:1]
	global_load_dwordx4 v[0:3], v[5:6], off
	global_load_dwordx4 v[18:21], v[5:6], off offset:192
	global_load_dwordx4 v[22:25], v[5:6], off offset:384
	;; [unrolled: 1-line block ×6, first 2 shown]
.LBB0_12:
	s_or_b64 exec, exec, s[4:5]
	s_waitcnt vmcnt(0)
	v_add_f64 v[5:6], v[38:39], v[18:19]
	v_add_f64 v[7:8], v[34:35], v[22:23]
	v_add_f64 v[9:10], v[30:31], v[26:27]
	v_add_f64 v[11:12], v[24:25], -v[36:37]
	v_add_f64 v[13:14], v[32:33], -v[28:29]
	;; [unrolled: 1-line block ×3, first 2 shown]
	s_mov_b32 s6, 0x37e14327
	s_mov_b32 s7, 0x3fe948f6
	;; [unrolled: 1-line block ×3, first 2 shown]
	v_add_f64 v[42:43], v[7:8], v[5:6]
	v_add_f64 v[46:47], v[5:6], -v[9:10]
	s_mov_b32 s0, 0x36b3c0b5
	v_add_f64 v[44:45], v[13:14], -v[11:12]
	v_add_f64 v[48:49], v[13:14], v[11:12]
	v_add_f64 v[11:12], v[11:12], -v[15:16]
	s_mov_b32 s11, 0xbfe11646
	s_mov_b32 s18, 0x429ad128
	v_add_f64 v[42:43], v[9:10], v[42:43]
	v_add_f64 v[9:10], v[9:10], -v[7:8]
	v_mul_f64 v[46:47], v[46:47], s[6:7]
	s_mov_b32 s1, 0x3fac98ee
	v_add_f64 v[13:14], v[15:16], -v[13:14]
	v_mul_f64 v[44:45], v[44:45], s[10:11]
	s_mov_b32 s19, 0x3febfeb5
	v_add_f64 v[5:6], v[7:8], -v[5:6]
	v_add_f64 v[0:1], v[0:1], v[42:43]
	v_mul_f64 v[7:8], v[9:10], s[0:1]
	v_fma_f64 v[50:51], v[9:10], s[0:1], v[46:47]
	v_mul_f64 v[9:10], v[11:12], s[18:19]
	s_mov_b32 s12, 0xaaaaaaaa
	s_mov_b32 s16, 0xb247c609
	;; [unrolled: 1-line block ×5, first 2 shown]
	v_add_f64 v[15:16], v[48:49], v[15:16]
	v_fma_f64 v[48:49], v[13:14], s[16:17], v[44:45]
	v_fma_f64 v[42:43], v[42:43], s[12:13], v[0:1]
	s_mov_b32 s21, 0x3fe77f67
	s_mov_b32 s23, 0xbfe77f67
	;; [unrolled: 1-line block ×5, first 2 shown]
	v_fma_f64 v[7:8], v[5:6], s[20:21], -v[7:8]
	v_fma_f64 v[5:6], v[5:6], s[22:23], -v[46:47]
	;; [unrolled: 1-line block ×4, first 2 shown]
	s_mov_b32 s24, 0x37c3f68c
	s_mov_b32 s25, 0x3fdc38aa
	v_fma_f64 v[13:14], v[15:16], s[24:25], v[48:49]
	v_add_f64 v[44:45], v[50:51], v[42:43]
	v_add_f64 v[7:8], v[7:8], v[42:43]
	;; [unrolled: 1-line block ×3, first 2 shown]
	v_fma_f64 v[9:10], v[15:16], s[24:25], v[9:10]
	v_fma_f64 v[11:12], v[15:16], s[24:25], v[11:12]
	s_mov_b32 s4, 0xcccccccd
	v_mul_hi_u32 v17, v4, s4
	v_lshrrev_b32_e32 v15, 3, v17
	v_mul_lo_u32 v17, v15, 10
	v_add_f64 v[15:16], v[13:14], v[44:45]
	v_add_f64 v[42:43], v[9:10], v[5:6]
	v_add_f64 v[46:47], v[7:8], -v[11:12]
	v_add_f64 v[48:49], v[11:12], v[7:8]
	v_add_f64 v[5:6], v[5:6], -v[9:10]
	v_add_f64 v[10:11], v[44:45], -v[13:14]
	v_sub_u32_e32 v4, v4, v17
	v_mul_u32_u24_e32 v8, 0x54, v4
	v_lshl_add_u32 v4, v8, 3, 0
	v_mad_u32_u24 v9, v68, 56, v4
	ds_write2_b64 v9, v[0:1], v[15:16] offset1:1
	ds_write2_b64 v9, v[42:43], v[46:47] offset0:2 offset1:3
	ds_write2_b64 v9, v[48:49], v[5:6] offset0:4 offset1:5
	s_load_dwordx2 s[4:5], s[2:3], 0x0
	v_lshl_add_u32 v71, v68, 3, v4
	s_movk_i32 s2, 0xffd0
	ds_write_b64 v9, v[10:11] offset:48
	s_waitcnt lgkmcnt(0)
	s_barrier
	v_mad_i32_i24 v70, v68, s2, v9
	ds_read_b64 v[0:1], v71
	ds_read_b64 v[58:59], v70 offset:528
	ds_read2_b64 v[14:17], v70 offset0:42 offset1:54
	ds_read2_b64 v[4:7], v70 offset0:12 offset1:24
	v_cmp_gt_u32_e64 s[2:3], 6, v68
	s_and_saveexec_b64 s[28:29], s[2:3]
	s_cbranch_execz .LBB0_14
; %bb.13:
	ds_read2_b64 v[10:13], v70 offset0:36 offset1:78
.LBB0_14:
	s_or_b64 exec, exec, s[28:29]
	v_add_f64 v[20:21], v[40:41], v[20:21]
	v_add_f64 v[24:25], v[36:37], v[24:25]
	v_add_f64 v[22:23], v[22:23], -v[34:35]
	v_add_f64 v[28:29], v[32:33], v[28:29]
	v_add_f64 v[26:27], v[30:31], -v[26:27]
	v_add_f64 v[18:19], v[18:19], -v[38:39]
	s_waitcnt lgkmcnt(0)
	s_barrier
	v_add_f64 v[30:31], v[24:25], v[20:21]
	v_add_f64 v[32:33], v[20:21], -v[28:29]
	v_add_f64 v[34:35], v[26:27], -v[22:23]
	;; [unrolled: 1-line block ×3, first 2 shown]
	v_add_f64 v[22:23], v[26:27], v[22:23]
	v_add_f64 v[26:27], v[18:19], -v[26:27]
	v_add_f64 v[20:21], v[24:25], -v[20:21]
	v_add_f64 v[30:31], v[28:29], v[30:31]
	v_add_f64 v[28:29], v[28:29], -v[24:25]
	v_mul_f64 v[32:33], v[32:33], s[6:7]
	v_mul_f64 v[34:35], v[34:35], s[10:11]
	;; [unrolled: 1-line block ×3, first 2 shown]
	v_add_f64 v[18:19], v[22:23], v[18:19]
	v_add_f64 v[2:3], v[2:3], v[30:31]
	v_mul_f64 v[24:25], v[28:29], s[0:1]
	v_fma_f64 v[22:23], v[28:29], s[0:1], v[32:33]
	v_fma_f64 v[28:29], v[26:27], s[16:17], v[34:35]
	v_fma_f64 v[34:35], v[36:37], s[18:19], -v[34:35]
	v_fma_f64 v[26:27], v[26:27], s[26:27], -v[38:39]
	;; [unrolled: 1-line block ×3, first 2 shown]
	v_fma_f64 v[30:31], v[30:31], s[12:13], v[2:3]
	v_fma_f64 v[20:21], v[20:21], s[20:21], -v[24:25]
	v_fma_f64 v[24:25], v[18:19], s[24:25], v[28:29]
	v_fma_f64 v[28:29], v[18:19], s[24:25], v[34:35]
	;; [unrolled: 1-line block ×3, first 2 shown]
	v_add_f64 v[22:23], v[22:23], v[30:31]
	v_add_f64 v[26:27], v[32:33], v[30:31]
	;; [unrolled: 1-line block ×3, first 2 shown]
	v_add_f64 v[30:31], v[22:23], -v[24:25]
	v_add_f64 v[32:33], v[26:27], -v[18:19]
	v_add_f64 v[34:35], v[28:29], v[20:21]
	v_add_f64 v[20:21], v[20:21], -v[28:29]
	v_add_f64 v[26:27], v[18:19], v[26:27]
	v_add_f64 v[18:19], v[24:25], v[22:23]
	ds_write2_b64 v9, v[2:3], v[30:31] offset1:1
	ds_write2_b64 v9, v[32:33], v[34:35] offset0:2 offset1:3
	ds_write2_b64 v9, v[20:21], v[26:27] offset0:4 offset1:5
	ds_write_b64 v9, v[18:19] offset:48
	s_waitcnt lgkmcnt(0)
	s_barrier
	ds_read2_b64 v[26:29], v70 offset0:42 offset1:54
	ds_read2_b64 v[22:25], v70 offset0:12 offset1:24
	ds_read_b64 v[60:61], v71
	ds_read_b64 v[62:63], v70 offset:528
	s_and_saveexec_b64 s[0:1], s[2:3]
	s_cbranch_execz .LBB0_16
; %bb.15:
	ds_read2_b64 v[18:21], v70 offset0:36 offset1:78
.LBB0_16:
	s_or_b64 exec, exec, s[0:1]
	v_add_u32_e32 v2, -7, v68
	v_cmp_gt_u32_e64 s[0:1], 7, v68
	v_cndmask_b32_e64 v2, v2, v68, s[0:1]
	v_mov_b32_e32 v3, 0
	v_lshlrev_b64 v[30:31], 4, v[2:3]
	v_mov_b32_e32 v3, s9
	v_add_co_u32_e64 v30, s[0:1], s8, v30
	v_addc_co_u32_e64 v31, s[0:1], v3, v31, s[0:1]
	v_add_u32_e32 v69, 12, v68
	v_mov_b32_e32 v3, 37
	v_mul_lo_u16_sdwa v32, v69, v3 dst_sel:DWORD dst_unused:UNUSED_PAD src0_sel:BYTE_0 src1_sel:DWORD
	v_sub_u16_sdwa v33, v69, v32 dst_sel:DWORD dst_unused:UNUSED_PAD src0_sel:DWORD src1_sel:BYTE_1
	v_lshrrev_b16_e32 v33, 1, v33
	v_and_b32_e32 v33, 0x7f, v33
	v_add_u16_sdwa v32, v33, v32 dst_sel:DWORD dst_unused:UNUSED_PAD src0_sel:DWORD src1_sel:BYTE_1
	v_lshrrev_b16_e32 v64, 2, v32
	v_mul_lo_u16_e32 v32, 7, v64
	v_mov_b32_e32 v9, 4
	v_sub_u16_e32 v65, v69, v32
	v_lshlrev_b32_sdwa v32, v9, v65 dst_sel:DWORD dst_unused:UNUSED_PAD src0_sel:DWORD src1_sel:BYTE_0
	global_load_dwordx4 v[34:37], v[30:31], off
	global_load_dwordx4 v[38:41], v32, s[8:9]
	v_add_u16_e32 v30, 24, v68
	v_mul_lo_u16_sdwa v32, v30, v3 dst_sel:DWORD dst_unused:UNUSED_PAD src0_sel:BYTE_0 src1_sel:DWORD
	v_sub_u16_sdwa v33, v30, v32 dst_sel:DWORD dst_unused:UNUSED_PAD src0_sel:DWORD src1_sel:BYTE_1
	v_lshrrev_b16_e32 v33, 1, v33
	v_and_b32_e32 v33, 0x7f, v33
	v_add_u16_sdwa v32, v33, v32 dst_sel:DWORD dst_unused:UNUSED_PAD src0_sel:DWORD src1_sel:BYTE_1
	v_add_u16_e32 v31, 36, v68
	v_lshrrev_b16_e32 v66, 2, v32
	v_mul_lo_u16_sdwa v3, v31, v3 dst_sel:DWORD dst_unused:UNUSED_PAD src0_sel:BYTE_0 src1_sel:DWORD
	v_mul_lo_u16_e32 v32, 7, v66
	v_sub_u16_e32 v67, v30, v32
	v_sub_u16_sdwa v32, v31, v3 dst_sel:DWORD dst_unused:UNUSED_PAD src0_sel:DWORD src1_sel:BYTE_1
	v_lshrrev_b16_e32 v32, 1, v32
	v_and_b32_e32 v32, 0x7f, v32
	v_add_u16_sdwa v3, v32, v3 dst_sel:DWORD dst_unused:UNUSED_PAD src0_sel:DWORD src1_sel:BYTE_1
	v_lshrrev_b16_e32 v3, 2, v3
	v_mul_lo_u16_e32 v3, 7, v3
	v_lshlrev_b32_sdwa v30, v9, v67 dst_sel:DWORD dst_unused:UNUSED_PAD src0_sel:DWORD src1_sel:BYTE_0
	v_sub_u16_e32 v72, v31, v3
	v_lshlrev_b32_sdwa v3, v9, v72 dst_sel:DWORD dst_unused:UNUSED_PAD src0_sel:DWORD src1_sel:BYTE_0
	global_load_dwordx4 v[46:49], v30, s[8:9]
	global_load_dwordx4 v[50:53], v3, s[8:9]
	v_mov_b32_e32 v3, 0x70
	v_cmp_lt_u32_e64 s[0:1], 6, v68
	v_cndmask_b32_e64 v3, 0, v3, s[0:1]
	v_lshlrev_b32_e32 v73, 3, v8
	v_add_u32_e32 v3, 0, v3
	v_lshlrev_b32_e32 v2, 3, v2
	v_add3_u32 v74, v3, v2, v73
	s_movk_i32 s6, 0x70
	v_mov_b32_e32 v8, 3
	v_mad_u32_u24 v9, v64, s6, 0
	v_mad_u32_u24 v64, v66, s6, 0
	v_lshlrev_b32_sdwa v65, v8, v65 dst_sel:DWORD dst_unused:UNUSED_PAD src0_sel:DWORD src1_sel:BYTE_0
	v_lshlrev_b32_sdwa v66, v8, v67 dst_sel:DWORD dst_unused:UNUSED_PAD src0_sel:DWORD src1_sel:BYTE_0
	v_add3_u32 v75, v9, v65, v73
	v_add3_u32 v76, v64, v66, v73
	s_waitcnt vmcnt(0) lgkmcnt(0)
	s_barrier
	v_mul_f64 v[30:31], v[26:27], v[36:37]
	v_mul_f64 v[32:33], v[28:29], v[40:41]
	v_fma_f64 v[30:31], v[14:15], v[34:35], -v[30:31]
	v_fma_f64 v[32:33], v[16:17], v[38:39], -v[32:33]
	v_add_f64 v[30:31], v[0:1], -v[30:31]
	v_add_f64 v[32:33], v[4:5], -v[32:33]
	v_mul_f64 v[42:43], v[62:63], v[48:49]
	v_mul_f64 v[44:45], v[20:21], v[52:53]
	v_fma_f64 v[4:5], v[4:5], 2.0, -v[32:33]
	v_fma_f64 v[42:43], v[58:59], v[46:47], -v[42:43]
	v_fma_f64 v[44:45], v[12:13], v[50:51], -v[44:45]
	v_add_f64 v[42:43], v[6:7], -v[42:43]
	v_add_f64 v[2:3], v[10:11], -v[44:45]
	v_fma_f64 v[44:45], v[0:1], 2.0, -v[30:31]
	v_fma_f64 v[6:7], v[6:7], 2.0, -v[42:43]
	;; [unrolled: 1-line block ×3, first 2 shown]
	ds_write2_b64 v74, v[44:45], v[30:31] offset1:7
	ds_write2_b64 v75, v[4:5], v[32:33] offset1:7
	;; [unrolled: 1-line block ×3, first 2 shown]
	s_and_saveexec_b64 s[0:1], s[2:3]
	s_cbranch_execz .LBB0_18
; %bb.17:
	v_lshlrev_b32_sdwa v4, v8, v72 dst_sel:DWORD dst_unused:UNUSED_PAD src0_sel:DWORD src1_sel:BYTE_0
	v_add3_u32 v4, 0, v4, v73
	ds_write2_b64 v4, v[0:1], v[2:3] offset0:70 offset1:77
.LBB0_18:
	s_or_b64 exec, exec, s[0:1]
	s_waitcnt lgkmcnt(0)
	s_barrier
	ds_read2_b64 v[30:33], v70 offset0:14 offset1:28
	ds_read2_b64 v[42:45], v70 offset0:42 offset1:56
	ds_read_b64 v[64:65], v71
	ds_read_b64 v[66:67], v70 offset:560
	v_cmp_gt_u32_e64 s[0:1], 2, v68
                                        ; implicit-def: $vgpr6_vgpr7
                                        ; implicit-def: $vgpr10_vgpr11
	s_and_saveexec_b64 s[6:7], s[0:1]
	s_cbranch_execz .LBB0_20
; %bb.19:
	ds_read2_b64 v[0:3], v70 offset0:12 offset1:26
	ds_read2_b64 v[8:11], v70 offset0:40 offset1:54
	;; [unrolled: 1-line block ×3, first 2 shown]
.LBB0_20:
	s_or_b64 exec, exec, s[6:7]
	v_mul_f64 v[14:15], v[14:15], v[36:37]
	v_mul_f64 v[12:13], v[12:13], v[52:53]
	;; [unrolled: 1-line block ×4, first 2 shown]
	s_waitcnt lgkmcnt(0)
	s_barrier
	v_fma_f64 v[14:15], v[26:27], v[34:35], v[14:15]
	v_fma_f64 v[12:13], v[20:21], v[50:51], v[12:13]
	;; [unrolled: 1-line block ×4, first 2 shown]
	v_add_f64 v[20:21], v[60:61], -v[14:15]
	v_add_f64 v[14:15], v[18:19], -v[12:13]
	;; [unrolled: 1-line block ×4, first 2 shown]
	v_fma_f64 v[28:29], v[60:61], 2.0, -v[20:21]
	v_fma_f64 v[12:13], v[18:19], 2.0, -v[14:15]
	;; [unrolled: 1-line block ×4, first 2 shown]
	ds_write2_b64 v74, v[28:29], v[20:21] offset1:7
	ds_write2_b64 v75, v[22:23], v[16:17] offset1:7
	;; [unrolled: 1-line block ×3, first 2 shown]
	s_and_saveexec_b64 s[6:7], s[2:3]
	s_cbranch_execz .LBB0_22
; %bb.21:
	v_mov_b32_e32 v16, 3
	v_lshlrev_b32_sdwa v16, v16, v72 dst_sel:DWORD dst_unused:UNUSED_PAD src0_sel:DWORD src1_sel:BYTE_0
	v_add3_u32 v16, 0, v16, v73
	ds_write2_b64 v16, v[12:13], v[14:15] offset0:70 offset1:77
.LBB0_22:
	s_or_b64 exec, exec, s[6:7]
	s_waitcnt lgkmcnt(0)
	s_barrier
	ds_read2_b64 v[24:27], v70 offset0:14 offset1:28
	ds_read2_b64 v[34:37], v70 offset0:42 offset1:56
	ds_read_b64 v[28:29], v71
	ds_read_b64 v[38:39], v70 offset:560
                                        ; implicit-def: $vgpr18_vgpr19
                                        ; implicit-def: $vgpr22_vgpr23
	s_and_saveexec_b64 s[2:3], s[0:1]
	s_cbranch_execz .LBB0_24
; %bb.23:
	ds_read2_b64 v[12:15], v70 offset0:12 offset1:26
	ds_read2_b64 v[20:23], v70 offset0:40 offset1:54
	;; [unrolled: 1-line block ×3, first 2 shown]
.LBB0_24:
	s_or_b64 exec, exec, s[2:3]
	s_and_saveexec_b64 s[2:3], vcc
	s_cbranch_execz .LBB0_27
; %bb.25:
	v_mul_lo_u32 v40, s5, v56
	v_mul_lo_u32 v41, s4, v57
	v_mad_u64_u32 v[70:71], s[2:3], s4, v56, 0
	s_mov_b32 s2, 0xe8584caa
	s_mov_b32 s3, 0x3febb67a
	v_add3_u32 v71, v71, v41, v40
	v_mul_u32_u24_e32 v40, 5, v68
	v_lshlrev_b32_e32 v76, 4, v40
	global_load_dwordx4 v[46:49], v76, s[8:9] offset:160
	global_load_dwordx4 v[50:53], v76, s[8:9] offset:144
	;; [unrolled: 1-line block ×4, first 2 shown]
	s_mov_b32 s5, 0xbfebb67a
	s_mov_b32 s4, s2
	s_mov_b32 s6, 0x92492493
	s_waitcnt vmcnt(3) lgkmcnt(2)
	v_mul_f64 v[72:73], v[36:37], v[48:49]
	s_waitcnt vmcnt(1)
	v_mul_f64 v[40:41], v[26:27], v[58:59]
	v_fma_f64 v[72:73], v[44:45], v[46:47], -v[72:73]
	v_fma_f64 v[40:41], v[32:33], v[56:57], -v[40:41]
	v_mul_f64 v[32:33], v[32:33], v[58:59]
	v_add_f64 v[74:75], v[40:41], -v[72:73]
	v_fma_f64 v[26:27], v[26:27], v[56:57], v[32:33]
	v_mul_f64 v[32:33], v[44:45], v[48:49]
	s_waitcnt vmcnt(0)
	v_mul_f64 v[44:45], v[24:25], v[62:63]
	v_fma_f64 v[32:33], v[36:37], v[46:47], v[32:33]
	v_fma_f64 v[56:57], v[30:31], v[60:61], -v[44:45]
	v_mul_f64 v[44:45], v[34:35], v[52:53]
	v_mul_f64 v[30:31], v[30:31], v[62:63]
	v_add_f64 v[36:37], v[26:27], v[32:33]
	v_fma_f64 v[58:59], v[42:43], v[50:51], -v[44:45]
	global_load_dwordx4 v[44:47], v76, s[8:9] offset:176
	v_mul_f64 v[42:43], v[42:43], v[52:53]
	v_fma_f64 v[24:25], v[24:25], v[60:61], v[30:31]
	s_waitcnt lgkmcnt(1)
	v_fma_f64 v[36:37], v[36:37], -0.5, v[28:29]
	v_add_f64 v[28:29], v[28:29], v[26:27]
	v_add_f64 v[26:27], v[26:27], -v[32:33]
	v_fma_f64 v[42:43], v[34:35], v[50:51], v[42:43]
	v_fma_f64 v[48:49], v[74:75], s[2:3], v[36:37]
	;; [unrolled: 1-line block ×3, first 2 shown]
	s_waitcnt vmcnt(0) lgkmcnt(0)
	v_mul_f64 v[76:77], v[38:39], v[46:47]
	v_mul_f64 v[34:35], v[66:67], v[46:47]
	v_fma_f64 v[76:77], v[66:67], v[44:45], -v[76:77]
	v_fma_f64 v[38:39], v[38:39], v[44:45], v[34:35]
	v_add_f64 v[66:67], v[28:29], v[32:33]
	v_add_f64 v[28:29], v[40:41], v[72:73]
	;; [unrolled: 1-line block ×4, first 2 shown]
	v_add_f64 v[34:35], v[42:43], -v[38:39]
	v_add_f64 v[46:47], v[58:59], -v[76:77]
	v_fma_f64 v[78:79], v[78:79], -0.5, v[56:57]
	v_fma_f64 v[50:51], v[30:31], -0.5, v[24:25]
	v_add_f64 v[24:25], v[24:25], v[42:43]
	v_fma_f64 v[42:43], v[28:29], -0.5, v[64:65]
	v_fma_f64 v[44:45], v[34:35], s[4:5], v[78:79]
	v_fma_f64 v[52:53], v[46:47], s[2:3], v[50:51]
	;; [unrolled: 1-line block ×4, first 2 shown]
	v_add_f64 v[24:25], v[24:25], v[38:39]
	v_fma_f64 v[74:75], v[26:27], s[4:5], v[42:43]
	v_fma_f64 v[26:27], v[26:27], s[2:3], v[42:43]
	v_mul_f64 v[28:29], v[44:45], -0.5
	v_mul_f64 v[30:31], v[52:53], -0.5
	v_mul_f64 v[32:33], v[36:37], s[2:3]
	v_mul_f64 v[34:35], v[46:47], s[4:5]
	v_add_f64 v[38:39], v[66:67], -v[24:25]
	v_fma_f64 v[60:61], v[44:45], s[4:5], v[30:31]
	v_fma_f64 v[44:45], v[52:53], s[2:3], v[28:29]
	v_fma_f64 v[50:51], v[36:37], 0.5, v[34:35]
	v_add_f64 v[36:37], v[64:65], v[40:41]
	v_fma_f64 v[52:53], v[46:47], 0.5, v[32:33]
	v_add_f64 v[30:31], v[48:49], -v[60:61]
	v_add_f64 v[28:29], v[74:75], -v[44:45]
	;; [unrolled: 1-line block ×3, first 2 shown]
	v_add_f64 v[64:65], v[36:37], v[72:73]
	v_add_f64 v[36:37], v[56:57], v[58:59]
	v_add_f64 v[46:47], v[62:63], v[50:51]
	v_add_f64 v[50:51], v[66:67], v[24:25]
	v_lshrrev_b32_e32 v24, 1, v68
	v_mul_hi_u32 v24, v24, s6
	v_add_f64 v[32:33], v[26:27], -v[52:53]
	v_add_f64 v[40:41], v[74:75], v[44:45]
	v_add_f64 v[44:45], v[26:27], v[52:53]
	;; [unrolled: 1-line block ×3, first 2 shown]
	v_lshrrev_b32_e32 v24, 2, v24
	v_mul_lo_u32 v24, v24, 14
	v_add_f64 v[42:43], v[48:49], v[60:61]
	v_sub_u32_e32 v52, v68, v24
	v_lshlrev_b64 v[24:25], 4, v[70:71]
	v_add_f64 v[48:49], v[64:65], v[56:57]
	v_add_co_u32_e32 v26, vcc, s14, v24
	v_mov_b32_e32 v24, s15
	v_addc_co_u32_e32 v27, vcc, v24, v25, vcc
	v_lshlrev_b64 v[24:25], 4, v[54:55]
	v_add_f64 v[36:37], v[64:65], -v[56:57]
	v_add_co_u32_e32 v26, vcc, v26, v24
	v_addc_co_u32_e32 v27, vcc, v27, v25, vcc
	v_lshlrev_b32_e32 v24, 4, v52
	v_add_co_u32_e32 v24, vcc, v26, v24
	v_addc_co_u32_e32 v25, vcc, 0, v27, vcc
	global_store_dwordx4 v[24:25], v[48:51], off
	global_store_dwordx4 v[24:25], v[44:47], off offset:224
	global_store_dwordx4 v[24:25], v[40:43], off offset:448
	;; [unrolled: 1-line block ×5, first 2 shown]
	v_add_u32_e32 v24, 12, v68
	v_cmp_gt_u32_e32 vcc, 14, v24
	s_and_b64 exec, exec, vcc
	s_cbranch_execz .LBB0_27
; %bb.26:
	v_add_u32_e32 v25, -2, v68
	v_cndmask_b32_e64 v25, v25, v69, s[0:1]
	v_mul_i32_i24_e32 v48, 5, v25
	v_mov_b32_e32 v49, 0
	v_lshlrev_b64 v[28:29], 4, v[48:49]
	v_mov_b32_e32 v25, s9
	v_add_co_u32_e32 v50, vcc, s8, v28
	v_addc_co_u32_e32 v51, vcc, v25, v29, vcc
	global_load_dwordx4 v[28:31], v[50:51], off offset:112
	global_load_dwordx4 v[32:35], v[50:51], off offset:128
	;; [unrolled: 1-line block ×5, first 2 shown]
	v_mov_b32_e32 v25, v49
	v_lshlrev_b64 v[24:25], 4, v[24:25]
	v_add_u32_e32 v48, 26, v68
	v_add_co_u32_e32 v24, vcc, v26, v24
	v_lshlrev_b64 v[50:51], 4, v[48:49]
	v_addc_co_u32_e32 v25, vcc, v27, v25, vcc
	v_add_u32_e32 v48, 40, v68
	v_lshlrev_b64 v[52:53], 4, v[48:49]
	v_add_co_u32_e32 v50, vcc, v26, v50
	v_add_u32_e32 v48, 54, v68
	v_addc_co_u32_e32 v51, vcc, v27, v51, vcc
	v_lshlrev_b64 v[54:55], 4, v[48:49]
	v_add_co_u32_e32 v52, vcc, v26, v52
	v_add_u32_e32 v48, 0x44, v68
	v_addc_co_u32_e32 v53, vcc, v27, v53, vcc
	;; [unrolled: 4-line block ×3, first 2 shown]
	v_lshlrev_b64 v[48:49], 4, v[48:49]
	s_waitcnt vmcnt(4)
	v_mul_f64 v[58:59], v[14:15], v[30:31]
	v_mul_f64 v[30:31], v[2:3], v[30:31]
	s_waitcnt vmcnt(2)
	v_mul_f64 v[62:63], v[22:23], v[38:39]
	v_mul_f64 v[38:39], v[10:11], v[38:39]
	;; [unrolled: 3-line block ×3, first 2 shown]
	v_mul_f64 v[60:61], v[20:21], v[34:35]
	v_mul_f64 v[34:35], v[8:9], v[34:35]
	;; [unrolled: 1-line block ×4, first 2 shown]
	v_fma_f64 v[10:11], v[10:11], v[36:37], -v[62:63]
	v_fma_f64 v[22:23], v[22:23], v[36:37], v[38:39]
	v_fma_f64 v[18:19], v[18:19], v[44:45], v[66:67]
	v_fma_f64 v[6:7], v[6:7], v[44:45], -v[46:47]
	v_fma_f64 v[2:3], v[2:3], v[28:29], -v[58:59]
	v_fma_f64 v[14:15], v[14:15], v[28:29], v[30:31]
	v_fma_f64 v[8:9], v[8:9], v[32:33], -v[60:61]
	v_fma_f64 v[20:21], v[20:21], v[32:33], v[34:35]
	;; [unrolled: 2-line block ×3, first 2 shown]
	v_add_f64 v[28:29], v[22:23], v[18:19]
	v_add_f64 v[30:31], v[10:11], v[6:7]
	v_add_f64 v[42:43], v[22:23], -v[18:19]
	v_add_f64 v[44:45], v[10:11], -v[6:7]
	v_add_f64 v[34:35], v[0:1], v[8:9]
	v_add_f64 v[40:41], v[12:13], v[20:21]
	;; [unrolled: 1-line block ×3, first 2 shown]
	v_add_f64 v[38:39], v[20:21], -v[16:17]
	v_fma_f64 v[28:29], v[28:29], -0.5, v[14:15]
	v_fma_f64 v[30:31], v[30:31], -0.5, v[2:3]
	v_add_f64 v[20:21], v[20:21], v[16:17]
	v_add_f64 v[2:3], v[2:3], v[10:11]
	v_add_f64 v[10:11], v[14:15], v[22:23]
	v_add_f64 v[8:9], v[8:9], -v[4:5]
	v_fma_f64 v[0:1], v[36:37], -0.5, v[0:1]
	v_add_f64 v[4:5], v[34:35], v[4:5]
	v_fma_f64 v[14:15], v[44:45], s[4:5], v[28:29]
	v_fma_f64 v[22:23], v[42:43], s[4:5], v[30:31]
	;; [unrolled: 1-line block ×4, first 2 shown]
	v_fma_f64 v[12:13], v[20:21], -0.5, v[12:13]
	v_add_f64 v[6:7], v[2:3], v[6:7]
	v_add_f64 v[10:11], v[10:11], v[18:19]
	;; [unrolled: 1-line block ×3, first 2 shown]
	v_mul_f64 v[2:3], v[14:15], s[2:3]
	v_mul_f64 v[18:19], v[22:23], -0.5
	v_mul_f64 v[20:21], v[30:31], s[4:5]
	v_mul_f64 v[34:35], v[28:29], -0.5
	v_fma_f64 v[36:37], v[38:39], s[2:3], v[0:1]
	v_fma_f64 v[40:41], v[8:9], s[4:5], v[12:13]
	;; [unrolled: 1-line block ×4, first 2 shown]
	v_fma_f64 v[30:31], v[30:31], 0.5, v[2:3]
	v_fma_f64 v[18:19], v[28:29], s[2:3], v[18:19]
	v_fma_f64 v[28:29], v[14:15], 0.5, v[20:21]
	v_fma_f64 v[22:23], v[22:23], s[4:5], v[34:35]
	v_add_f64 v[0:1], v[4:5], v[6:7]
	v_add_f64 v[2:3], v[16:17], v[10:11]
	v_add_f64 v[4:5], v[4:5], -v[6:7]
	v_add_f64 v[6:7], v[16:17], -v[10:11]
	v_add_f64 v[8:9], v[36:37], v[30:31]
	v_add_f64 v[12:13], v[38:39], v[18:19]
	v_add_f64 v[10:11], v[40:41], v[28:29]
	v_add_f64 v[14:15], v[42:43], v[22:23]
	v_add_f64 v[16:17], v[36:37], -v[30:31]
	v_add_f64 v[20:21], v[38:39], -v[18:19]
	;; [unrolled: 1-line block ×3, first 2 shown]
	v_add_co_u32_e32 v32, vcc, v26, v56
	v_add_f64 v[22:23], v[42:43], -v[22:23]
	v_addc_co_u32_e32 v33, vcc, v27, v57, vcc
	v_add_co_u32_e32 v26, vcc, v26, v48
	v_addc_co_u32_e32 v27, vcc, v27, v49, vcc
	global_store_dwordx4 v[24:25], v[0:3], off
	global_store_dwordx4 v[54:55], v[4:7], off
	;; [unrolled: 1-line block ×6, first 2 shown]
.LBB0_27:
	s_endpgm
	.section	.rodata,"a",@progbits
	.p2align	6, 0x0
	.amdhsa_kernel fft_rtc_fwd_len84_factors_7_2_6_wgs_120_tpt_12_halfLds_dp_op_CI_CI_unitstride_sbrr_dirReg
		.amdhsa_group_segment_fixed_size 0
		.amdhsa_private_segment_fixed_size 0
		.amdhsa_kernarg_size 104
		.amdhsa_user_sgpr_count 6
		.amdhsa_user_sgpr_private_segment_buffer 1
		.amdhsa_user_sgpr_dispatch_ptr 0
		.amdhsa_user_sgpr_queue_ptr 0
		.amdhsa_user_sgpr_kernarg_segment_ptr 1
		.amdhsa_user_sgpr_dispatch_id 0
		.amdhsa_user_sgpr_flat_scratch_init 0
		.amdhsa_user_sgpr_private_segment_size 0
		.amdhsa_uses_dynamic_stack 0
		.amdhsa_system_sgpr_private_segment_wavefront_offset 0
		.amdhsa_system_sgpr_workgroup_id_x 1
		.amdhsa_system_sgpr_workgroup_id_y 0
		.amdhsa_system_sgpr_workgroup_id_z 0
		.amdhsa_system_sgpr_workgroup_info 0
		.amdhsa_system_vgpr_workitem_id 0
		.amdhsa_next_free_vgpr 80
		.amdhsa_next_free_sgpr 30
		.amdhsa_reserve_vcc 1
		.amdhsa_reserve_flat_scratch 0
		.amdhsa_float_round_mode_32 0
		.amdhsa_float_round_mode_16_64 0
		.amdhsa_float_denorm_mode_32 3
		.amdhsa_float_denorm_mode_16_64 3
		.amdhsa_dx10_clamp 1
		.amdhsa_ieee_mode 1
		.amdhsa_fp16_overflow 0
		.amdhsa_exception_fp_ieee_invalid_op 0
		.amdhsa_exception_fp_denorm_src 0
		.amdhsa_exception_fp_ieee_div_zero 0
		.amdhsa_exception_fp_ieee_overflow 0
		.amdhsa_exception_fp_ieee_underflow 0
		.amdhsa_exception_fp_ieee_inexact 0
		.amdhsa_exception_int_div_zero 0
	.end_amdhsa_kernel
	.text
.Lfunc_end0:
	.size	fft_rtc_fwd_len84_factors_7_2_6_wgs_120_tpt_12_halfLds_dp_op_CI_CI_unitstride_sbrr_dirReg, .Lfunc_end0-fft_rtc_fwd_len84_factors_7_2_6_wgs_120_tpt_12_halfLds_dp_op_CI_CI_unitstride_sbrr_dirReg
                                        ; -- End function
	.section	.AMDGPU.csdata,"",@progbits
; Kernel info:
; codeLenInByte = 5036
; NumSgprs: 34
; NumVgprs: 80
; ScratchSize: 0
; MemoryBound: 1
; FloatMode: 240
; IeeeMode: 1
; LDSByteSize: 0 bytes/workgroup (compile time only)
; SGPRBlocks: 4
; VGPRBlocks: 19
; NumSGPRsForWavesPerEU: 34
; NumVGPRsForWavesPerEU: 80
; Occupancy: 3
; WaveLimiterHint : 1
; COMPUTE_PGM_RSRC2:SCRATCH_EN: 0
; COMPUTE_PGM_RSRC2:USER_SGPR: 6
; COMPUTE_PGM_RSRC2:TRAP_HANDLER: 0
; COMPUTE_PGM_RSRC2:TGID_X_EN: 1
; COMPUTE_PGM_RSRC2:TGID_Y_EN: 0
; COMPUTE_PGM_RSRC2:TGID_Z_EN: 0
; COMPUTE_PGM_RSRC2:TIDIG_COMP_CNT: 0
	.type	__hip_cuid_1f5c13111d18574,@object ; @__hip_cuid_1f5c13111d18574
	.section	.bss,"aw",@nobits
	.globl	__hip_cuid_1f5c13111d18574
__hip_cuid_1f5c13111d18574:
	.byte	0                               ; 0x0
	.size	__hip_cuid_1f5c13111d18574, 1

	.ident	"AMD clang version 19.0.0git (https://github.com/RadeonOpenCompute/llvm-project roc-6.4.0 25133 c7fe45cf4b819c5991fe208aaa96edf142730f1d)"
	.section	".note.GNU-stack","",@progbits
	.addrsig
	.addrsig_sym __hip_cuid_1f5c13111d18574
	.amdgpu_metadata
---
amdhsa.kernels:
  - .args:
      - .actual_access:  read_only
        .address_space:  global
        .offset:         0
        .size:           8
        .value_kind:     global_buffer
      - .offset:         8
        .size:           8
        .value_kind:     by_value
      - .actual_access:  read_only
        .address_space:  global
        .offset:         16
        .size:           8
        .value_kind:     global_buffer
      - .actual_access:  read_only
        .address_space:  global
        .offset:         24
        .size:           8
        .value_kind:     global_buffer
      - .actual_access:  read_only
        .address_space:  global
        .offset:         32
        .size:           8
        .value_kind:     global_buffer
      - .offset:         40
        .size:           8
        .value_kind:     by_value
      - .actual_access:  read_only
        .address_space:  global
        .offset:         48
        .size:           8
        .value_kind:     global_buffer
      - .actual_access:  read_only
        .address_space:  global
        .offset:         56
        .size:           8
        .value_kind:     global_buffer
      - .offset:         64
        .size:           4
        .value_kind:     by_value
      - .actual_access:  read_only
        .address_space:  global
        .offset:         72
        .size:           8
        .value_kind:     global_buffer
      - .actual_access:  read_only
        .address_space:  global
        .offset:         80
        .size:           8
        .value_kind:     global_buffer
      - .actual_access:  read_only
        .address_space:  global
        .offset:         88
        .size:           8
        .value_kind:     global_buffer
      - .actual_access:  write_only
        .address_space:  global
        .offset:         96
        .size:           8
        .value_kind:     global_buffer
    .group_segment_fixed_size: 0
    .kernarg_segment_align: 8
    .kernarg_segment_size: 104
    .language:       OpenCL C
    .language_version:
      - 2
      - 0
    .max_flat_workgroup_size: 120
    .name:           fft_rtc_fwd_len84_factors_7_2_6_wgs_120_tpt_12_halfLds_dp_op_CI_CI_unitstride_sbrr_dirReg
    .private_segment_fixed_size: 0
    .sgpr_count:     34
    .sgpr_spill_count: 0
    .symbol:         fft_rtc_fwd_len84_factors_7_2_6_wgs_120_tpt_12_halfLds_dp_op_CI_CI_unitstride_sbrr_dirReg.kd
    .uniform_work_group_size: 1
    .uses_dynamic_stack: false
    .vgpr_count:     80
    .vgpr_spill_count: 0
    .wavefront_size: 64
amdhsa.target:   amdgcn-amd-amdhsa--gfx906
amdhsa.version:
  - 1
  - 2
...

	.end_amdgpu_metadata
